;; amdgpu-corpus repo=ROCm/rocFFT kind=compiled arch=gfx1030 opt=O3
	.text
	.amdgcn_target "amdgcn-amd-amdhsa--gfx1030"
	.amdhsa_code_object_version 6
	.protected	fft_rtc_fwd_len1300_factors_10_10_13_wgs_130_tpt_130_half_op_CI_CI_unitstride_sbrr_R2C_dirReg ; -- Begin function fft_rtc_fwd_len1300_factors_10_10_13_wgs_130_tpt_130_half_op_CI_CI_unitstride_sbrr_R2C_dirReg
	.globl	fft_rtc_fwd_len1300_factors_10_10_13_wgs_130_tpt_130_half_op_CI_CI_unitstride_sbrr_R2C_dirReg
	.p2align	8
	.type	fft_rtc_fwd_len1300_factors_10_10_13_wgs_130_tpt_130_half_op_CI_CI_unitstride_sbrr_R2C_dirReg,@function
fft_rtc_fwd_len1300_factors_10_10_13_wgs_130_tpt_130_half_op_CI_CI_unitstride_sbrr_R2C_dirReg: ; @fft_rtc_fwd_len1300_factors_10_10_13_wgs_130_tpt_130_half_op_CI_CI_unitstride_sbrr_R2C_dirReg
; %bb.0:
	s_clause 0x2
	s_load_dwordx4 s[12:15], s[4:5], 0x0
	s_load_dwordx4 s[8:11], s[4:5], 0x58
	;; [unrolled: 1-line block ×3, first 2 shown]
	v_mul_u32_u24_e32 v1, 0x1f9, v0
	v_mov_b32_e32 v3, 0
	v_mov_b32_e32 v7, 0
	;; [unrolled: 1-line block ×3, first 2 shown]
	v_add_nc_u32_sdwa v9, s6, v1 dst_sel:DWORD dst_unused:UNUSED_PAD src0_sel:DWORD src1_sel:WORD_1
	v_mov_b32_e32 v10, v3
	s_waitcnt lgkmcnt(0)
	v_cmp_lt_u64_e64 s0, s[14:15], 2
	s_and_b32 vcc_lo, exec_lo, s0
	s_cbranch_vccnz .LBB0_8
; %bb.1:
	s_load_dwordx2 s[0:1], s[4:5], 0x10
	v_mov_b32_e32 v7, 0
	v_mov_b32_e32 v8, 0
	s_add_u32 s2, s18, 8
	s_addc_u32 s3, s19, 0
	v_mov_b32_e32 v1, v7
	s_add_u32 s6, s16, 8
	v_mov_b32_e32 v2, v8
	s_addc_u32 s7, s17, 0
	s_mov_b64 s[22:23], 1
	s_waitcnt lgkmcnt(0)
	s_add_u32 s20, s0, 8
	s_addc_u32 s21, s1, 0
.LBB0_2:                                ; =>This Inner Loop Header: Depth=1
	s_load_dwordx2 s[24:25], s[20:21], 0x0
                                        ; implicit-def: $vgpr5_vgpr6
	s_mov_b32 s0, exec_lo
	s_waitcnt lgkmcnt(0)
	v_or_b32_e32 v4, s25, v10
	v_cmpx_ne_u64_e32 0, v[3:4]
	s_xor_b32 s1, exec_lo, s0
	s_cbranch_execz .LBB0_4
; %bb.3:                                ;   in Loop: Header=BB0_2 Depth=1
	v_cvt_f32_u32_e32 v4, s24
	v_cvt_f32_u32_e32 v5, s25
	s_sub_u32 s0, 0, s24
	s_subb_u32 s26, 0, s25
	v_fmac_f32_e32 v4, 0x4f800000, v5
	v_rcp_f32_e32 v4, v4
	v_mul_f32_e32 v4, 0x5f7ffffc, v4
	v_mul_f32_e32 v5, 0x2f800000, v4
	v_trunc_f32_e32 v5, v5
	v_fmac_f32_e32 v4, 0xcf800000, v5
	v_cvt_u32_f32_e32 v5, v5
	v_cvt_u32_f32_e32 v4, v4
	v_mul_lo_u32 v6, s0, v5
	v_mul_hi_u32 v11, s0, v4
	v_mul_lo_u32 v12, s26, v4
	v_add_nc_u32_e32 v6, v11, v6
	v_mul_lo_u32 v11, s0, v4
	v_add_nc_u32_e32 v6, v6, v12
	v_mul_hi_u32 v12, v4, v11
	v_mul_lo_u32 v13, v4, v6
	v_mul_hi_u32 v14, v4, v6
	v_mul_hi_u32 v15, v5, v11
	v_mul_lo_u32 v11, v5, v11
	v_mul_hi_u32 v16, v5, v6
	v_mul_lo_u32 v6, v5, v6
	v_add_co_u32 v12, vcc_lo, v12, v13
	v_add_co_ci_u32_e32 v13, vcc_lo, 0, v14, vcc_lo
	v_add_co_u32 v11, vcc_lo, v12, v11
	v_add_co_ci_u32_e32 v11, vcc_lo, v13, v15, vcc_lo
	v_add_co_ci_u32_e32 v12, vcc_lo, 0, v16, vcc_lo
	v_add_co_u32 v6, vcc_lo, v11, v6
	v_add_co_ci_u32_e32 v11, vcc_lo, 0, v12, vcc_lo
	v_add_co_u32 v4, vcc_lo, v4, v6
	v_add_co_ci_u32_e32 v5, vcc_lo, v5, v11, vcc_lo
	v_mul_hi_u32 v6, s0, v4
	v_mul_lo_u32 v12, s26, v4
	v_mul_lo_u32 v11, s0, v5
	v_add_nc_u32_e32 v6, v6, v11
	v_mul_lo_u32 v11, s0, v4
	v_add_nc_u32_e32 v6, v6, v12
	v_mul_hi_u32 v12, v4, v11
	v_mul_lo_u32 v13, v4, v6
	v_mul_hi_u32 v14, v4, v6
	v_mul_hi_u32 v15, v5, v11
	v_mul_lo_u32 v11, v5, v11
	v_mul_hi_u32 v16, v5, v6
	v_mul_lo_u32 v6, v5, v6
	v_add_co_u32 v12, vcc_lo, v12, v13
	v_add_co_ci_u32_e32 v13, vcc_lo, 0, v14, vcc_lo
	v_add_co_u32 v11, vcc_lo, v12, v11
	v_add_co_ci_u32_e32 v11, vcc_lo, v13, v15, vcc_lo
	v_add_co_ci_u32_e32 v12, vcc_lo, 0, v16, vcc_lo
	v_add_co_u32 v6, vcc_lo, v11, v6
	v_add_co_ci_u32_e32 v11, vcc_lo, 0, v12, vcc_lo
	v_add_co_u32 v6, vcc_lo, v4, v6
	v_add_co_ci_u32_e32 v13, vcc_lo, v5, v11, vcc_lo
	v_mul_hi_u32 v15, v9, v6
	v_mad_u64_u32 v[11:12], null, v10, v6, 0
	v_mad_u64_u32 v[4:5], null, v9, v13, 0
	;; [unrolled: 1-line block ×3, first 2 shown]
	v_add_co_u32 v4, vcc_lo, v15, v4
	v_add_co_ci_u32_e32 v5, vcc_lo, 0, v5, vcc_lo
	v_add_co_u32 v4, vcc_lo, v4, v11
	v_add_co_ci_u32_e32 v4, vcc_lo, v5, v12, vcc_lo
	v_add_co_ci_u32_e32 v5, vcc_lo, 0, v14, vcc_lo
	v_add_co_u32 v11, vcc_lo, v4, v13
	v_add_co_ci_u32_e32 v6, vcc_lo, 0, v5, vcc_lo
	v_mul_lo_u32 v12, s25, v11
	v_mad_u64_u32 v[4:5], null, s24, v11, 0
	v_mul_lo_u32 v13, s24, v6
	v_sub_co_u32 v4, vcc_lo, v9, v4
	v_add3_u32 v5, v5, v13, v12
	v_sub_nc_u32_e32 v12, v10, v5
	v_subrev_co_ci_u32_e64 v12, s0, s25, v12, vcc_lo
	v_add_co_u32 v13, s0, v11, 2
	v_add_co_ci_u32_e64 v14, s0, 0, v6, s0
	v_sub_co_u32 v15, s0, v4, s24
	v_sub_co_ci_u32_e32 v5, vcc_lo, v10, v5, vcc_lo
	v_subrev_co_ci_u32_e64 v12, s0, 0, v12, s0
	v_cmp_le_u32_e32 vcc_lo, s24, v15
	v_cmp_eq_u32_e64 s0, s25, v5
	v_cndmask_b32_e64 v15, 0, -1, vcc_lo
	v_cmp_le_u32_e32 vcc_lo, s25, v12
	v_cndmask_b32_e64 v16, 0, -1, vcc_lo
	v_cmp_le_u32_e32 vcc_lo, s24, v4
	;; [unrolled: 2-line block ×3, first 2 shown]
	v_cndmask_b32_e64 v17, 0, -1, vcc_lo
	v_cmp_eq_u32_e32 vcc_lo, s25, v12
	v_cndmask_b32_e64 v4, v17, v4, s0
	v_cndmask_b32_e32 v12, v16, v15, vcc_lo
	v_add_co_u32 v15, vcc_lo, v11, 1
	v_add_co_ci_u32_e32 v16, vcc_lo, 0, v6, vcc_lo
	v_cmp_ne_u32_e32 vcc_lo, 0, v12
	v_cndmask_b32_e32 v5, v16, v14, vcc_lo
	v_cndmask_b32_e32 v12, v15, v13, vcc_lo
	v_cmp_ne_u32_e32 vcc_lo, 0, v4
	v_cndmask_b32_e32 v6, v6, v5, vcc_lo
	v_cndmask_b32_e32 v5, v11, v12, vcc_lo
.LBB0_4:                                ;   in Loop: Header=BB0_2 Depth=1
	s_andn2_saveexec_b32 s0, s1
	s_cbranch_execz .LBB0_6
; %bb.5:                                ;   in Loop: Header=BB0_2 Depth=1
	v_cvt_f32_u32_e32 v4, s24
	s_sub_i32 s1, 0, s24
	v_rcp_iflag_f32_e32 v4, v4
	v_mul_f32_e32 v4, 0x4f7ffffe, v4
	v_cvt_u32_f32_e32 v4, v4
	v_mul_lo_u32 v5, s1, v4
	v_mul_hi_u32 v5, v4, v5
	v_add_nc_u32_e32 v4, v4, v5
	v_mul_hi_u32 v4, v9, v4
	v_mul_lo_u32 v5, v4, s24
	v_add_nc_u32_e32 v6, 1, v4
	v_sub_nc_u32_e32 v5, v9, v5
	v_subrev_nc_u32_e32 v11, s24, v5
	v_cmp_le_u32_e32 vcc_lo, s24, v5
	v_cndmask_b32_e32 v5, v5, v11, vcc_lo
	v_cndmask_b32_e32 v4, v4, v6, vcc_lo
	v_cmp_le_u32_e32 vcc_lo, s24, v5
	v_add_nc_u32_e32 v6, 1, v4
	v_cndmask_b32_e32 v5, v4, v6, vcc_lo
	v_mov_b32_e32 v6, v3
.LBB0_6:                                ;   in Loop: Header=BB0_2 Depth=1
	s_or_b32 exec_lo, exec_lo, s0
	v_mul_lo_u32 v4, v6, s24
	v_mul_lo_u32 v13, v5, s25
	s_load_dwordx2 s[0:1], s[6:7], 0x0
	v_mad_u64_u32 v[11:12], null, v5, s24, 0
	s_load_dwordx2 s[24:25], s[2:3], 0x0
	s_add_u32 s22, s22, 1
	s_addc_u32 s23, s23, 0
	s_add_u32 s2, s2, 8
	s_addc_u32 s3, s3, 0
	s_add_u32 s6, s6, 8
	v_add3_u32 v4, v12, v13, v4
	v_sub_co_u32 v9, vcc_lo, v9, v11
	s_addc_u32 s7, s7, 0
	s_add_u32 s20, s20, 8
	v_sub_co_ci_u32_e32 v4, vcc_lo, v10, v4, vcc_lo
	s_addc_u32 s21, s21, 0
	s_waitcnt lgkmcnt(0)
	v_mul_lo_u32 v10, s0, v4
	v_mul_lo_u32 v11, s1, v9
	v_mad_u64_u32 v[7:8], null, s0, v9, v[7:8]
	v_mul_lo_u32 v4, s24, v4
	v_mul_lo_u32 v12, s25, v9
	v_mad_u64_u32 v[1:2], null, s24, v9, v[1:2]
	v_cmp_ge_u64_e64 s0, s[22:23], s[14:15]
	v_add3_u32 v8, v11, v8, v10
	v_add3_u32 v2, v12, v2, v4
	s_and_b32 vcc_lo, exec_lo, s0
	s_cbranch_vccnz .LBB0_9
; %bb.7:                                ;   in Loop: Header=BB0_2 Depth=1
	v_mov_b32_e32 v10, v6
	v_mov_b32_e32 v9, v5
	s_branch .LBB0_2
.LBB0_8:
	v_mov_b32_e32 v1, v7
	v_mov_b32_e32 v5, v9
	;; [unrolled: 1-line block ×4, first 2 shown]
.LBB0_9:
	s_load_dwordx2 s[0:1], s[4:5], 0x28
	v_mul_hi_u32 v4, 0x1f81f82, v0
	s_lshl_b64 s[4:5], s[14:15], 3
                                        ; implicit-def: $vgpr3
	s_add_u32 s2, s18, s4
	s_addc_u32 s3, s19, s5
	s_waitcnt lgkmcnt(0)
	v_cmp_gt_u64_e32 vcc_lo, s[0:1], v[5:6]
	v_cmp_le_u64_e64 s0, s[0:1], v[5:6]
	s_and_saveexec_b32 s1, s0
	s_xor_b32 s0, exec_lo, s1
; %bb.10:
	v_mul_u32_u24_e32 v3, 0x82, v4
                                        ; implicit-def: $vgpr4
                                        ; implicit-def: $vgpr7_vgpr8
	v_sub_nc_u32_e32 v3, v0, v3
                                        ; implicit-def: $vgpr0
; %bb.11:
	s_andn2_saveexec_b32 s1, s0
	s_cbranch_execz .LBB0_13
; %bb.12:
	s_add_u32 s4, s16, s4
	s_addc_u32 s5, s17, s5
	v_lshlrev_b64 v[7:8], 2, v[7:8]
	s_load_dwordx2 s[4:5], s[4:5], 0x0
	s_waitcnt lgkmcnt(0)
	v_mul_lo_u32 v3, s5, v5
	v_mul_lo_u32 v11, s4, v6
	v_mad_u64_u32 v[9:10], null, s4, v5, 0
	v_add3_u32 v10, v10, v11, v3
	v_mul_u32_u24_e32 v3, 0x82, v4
	v_lshlrev_b64 v[9:10], 2, v[9:10]
	v_sub_nc_u32_e32 v3, v0, v3
	v_lshlrev_b32_e32 v13, 2, v3
	v_add_co_u32 v0, s0, s8, v9
	v_add_co_ci_u32_e64 v4, s0, s9, v10, s0
	v_add_co_u32 v0, s0, v0, v7
	v_add_co_ci_u32_e64 v4, s0, v4, v8, s0
	;; [unrolled: 2-line block ×5, first 2 shown]
	s_clause 0x9
	global_load_dword v0, v[7:8], off
	global_load_dword v4, v[7:8], off offset:520
	global_load_dword v14, v[7:8], off offset:1040
	global_load_dword v7, v[7:8], off offset:1560
	global_load_dword v8, v[9:10], off offset:32
	global_load_dword v15, v[9:10], off offset:552
	global_load_dword v16, v[9:10], off offset:1072
	global_load_dword v9, v[9:10], off offset:1592
	global_load_dword v10, v[11:12], off offset:64
	global_load_dword v11, v[11:12], off offset:584
	v_add_nc_u32_e32 v12, 0, v13
	v_add_nc_u32_e32 v13, 0x400, v12
	;; [unrolled: 1-line block ×5, first 2 shown]
	s_waitcnt vmcnt(8)
	ds_write2_b32 v12, v0, v4 offset1:130
	s_waitcnt vmcnt(6)
	ds_write2_b32 v13, v14, v7 offset0:4 offset1:134
	s_waitcnt vmcnt(4)
	ds_write2_b32 v17, v8, v15 offset0:8 offset1:138
	;; [unrolled: 2-line block ×4, first 2 shown]
.LBB0_13:
	s_or_b32 exec_lo, exec_lo, s1
	v_lshl_add_u32 v0, v3, 2, 0
	s_load_dwordx2 s[2:3], s[2:3], 0x0
	s_waitcnt lgkmcnt(0)
	s_barrier
	buffer_gl0_inv
	v_add_nc_u32_e32 v17, 0x400, v0
	v_add_nc_u32_e32 v19, 0x800, v0
	;; [unrolled: 1-line block ×4, first 2 shown]
	ds_read2_b32 v[7:8], v0 offset1:130
	ds_read2_b32 v[9:10], v17 offset0:4 offset1:134
	ds_read2_b32 v[11:12], v19 offset0:8 offset1:138
	;; [unrolled: 1-line block ×4, first 2 shown]
	v_and_b32_e32 v38, 0xff, v3
	v_mad_u32_u24 v18, v3, 36, v0
	s_waitcnt lgkmcnt(0)
	s_barrier
	buffer_gl0_inv
	v_cmp_gt_u32_e64 s0, 0x64, v3
	v_lshrrev_b32_e32 v21, 16, v7
	v_pk_add_f16 v30, v7, v9
	v_sub_f16_e32 v26, v9, v11
	v_add_f16_e32 v22, v11, v13
	v_sub_f16_sdwa v23, v9, v15 dst_sel:DWORD dst_unused:UNUSED_PAD src0_sel:WORD_1 src1_sel:WORD_1
	v_sub_f16_e32 v25, v15, v13
	v_sub_f16_e32 v28, v13, v15
	;; [unrolled: 1-line block ×3, first 2 shown]
	v_fma_f16 v22, -0.5, v22, v7
	v_sub_f16_sdwa v24, v11, v13 dst_sel:DWORD dst_unused:UNUSED_PAD src0_sel:WORD_1 src1_sel:WORD_1
	v_add_f16_e32 v27, v9, v15
	v_add_f16_sdwa v31, v11, v13 dst_sel:DWORD dst_unused:UNUSED_PAD src0_sel:WORD_1 src1_sel:WORD_1
	v_add_f16_e32 v25, v26, v25
	v_add_f16_e32 v26, v29, v28
	v_fmamk_f16 v29, v23, 0x3b9c, v22
	v_fmac_f16_e32 v22, 0xbb9c, v23
	v_sub_f16_e32 v32, v9, v15
	v_fma_f16 v7, -0.5, v27, v7
	v_pk_add_f16 v27, v30, v11
	v_fma_f16 v28, -0.5, v31, v21
	v_fmac_f16_e32 v29, 0x38b4, v24
	v_fmac_f16_e32 v22, 0xb8b4, v24
	v_sub_f16_e32 v33, v11, v13
	v_sub_f16_sdwa v34, v9, v11 dst_sel:DWORD dst_unused:UNUSED_PAD src0_sel:WORD_1 src1_sel:WORD_1
	v_sub_f16_sdwa v35, v15, v13 dst_sel:DWORD dst_unused:UNUSED_PAD src0_sel:WORD_1 src1_sel:WORD_1
	v_add_f16_sdwa v36, v9, v15 dst_sel:DWORD dst_unused:UNUSED_PAD src0_sel:WORD_1 src1_sel:WORD_1
	v_fmamk_f16 v30, v24, 0xbb9c, v7
	v_fmac_f16_e32 v7, 0x3b9c, v24
	v_pk_add_f16 v27, v27, v13
	v_fmamk_f16 v31, v32, 0xbb9c, v28
	v_fmac_f16_e32 v29, 0x34f2, v25
	v_fmac_f16_e32 v22, 0x34f2, v25
	v_fmac_f16_e32 v28, 0x3b9c, v32
	v_add_f16_e32 v25, v12, v14
	v_fmac_f16_e32 v30, 0x38b4, v23
	v_fmac_f16_e32 v7, 0xb8b4, v23
	;; [unrolled: 1-line block ×3, first 2 shown]
	v_add_f16_e32 v23, v34, v35
	v_fmac_f16_e32 v21, -0.5, v36
	v_pk_add_f16 v24, v27, v15
	v_fmac_f16_e32 v28, 0x38b4, v33
	v_sub_f16_sdwa v9, v11, v9 dst_sel:DWORD dst_unused:UNUSED_PAD src0_sel:WORD_1 src1_sel:WORD_1
	v_sub_f16_sdwa v11, v13, v15 dst_sel:DWORD dst_unused:UNUSED_PAD src0_sel:WORD_1 src1_sel:WORD_1
	v_fma_f16 v13, -0.5, v25, v8
	v_sub_f16_sdwa v15, v10, v16 dst_sel:DWORD dst_unused:UNUSED_PAD src0_sel:WORD_1 src1_sel:WORD_1
	v_fmac_f16_e32 v30, 0x34f2, v26
	v_fmac_f16_e32 v7, 0x34f2, v26
	;; [unrolled: 1-line block ×3, first 2 shown]
	v_fmamk_f16 v26, v33, 0x3b9c, v21
	v_fmac_f16_e32 v28, 0x34f2, v23
	v_add_f16_e32 v9, v9, v11
	v_fmac_f16_e32 v21, 0xbb9c, v33
	v_fmamk_f16 v11, v15, 0x3b9c, v13
	v_add_f16_e32 v23, v10, v16
	v_sub_f16_sdwa v25, v12, v14 dst_sel:DWORD dst_unused:UNUSED_PAD src0_sel:WORD_1 src1_sel:WORD_1
	v_sub_f16_e32 v27, v16, v14
	v_sub_f16_e32 v33, v10, v12
	v_fmac_f16_e32 v13, 0xbb9c, v15
	v_fmac_f16_e32 v26, 0xb8b4, v32
	v_fma_f16 v23, -0.5, v23, v8
	v_fmac_f16_e32 v21, 0x38b4, v32
	v_fmac_f16_e32 v11, 0x38b4, v25
	v_add_f16_e32 v27, v33, v27
	v_sub_f16_e32 v33, v14, v16
	v_sub_f16_e32 v34, v12, v10
	v_fmac_f16_e32 v13, 0xb8b4, v25
	v_fmac_f16_e32 v26, 0x34f2, v9
	v_fmamk_f16 v32, v25, 0xbb9c, v23
	v_fmac_f16_e32 v21, 0x34f2, v9
	v_fmac_f16_e32 v11, 0x34f2, v27
	v_add_f16_e32 v9, v34, v33
	v_fmac_f16_e32 v23, 0x3b9c, v25
	v_add_f16_sdwa v25, v12, v14 dst_sel:DWORD dst_unused:UNUSED_PAD src0_sel:WORD_1 src1_sel:WORD_1
	v_lshrrev_b32_e32 v33, 16, v8
	v_fmac_f16_e32 v13, 0x34f2, v27
	v_add_f16_sdwa v27, v10, v16 dst_sel:DWORD dst_unused:UNUSED_PAD src0_sel:WORD_1 src1_sel:WORD_1
	v_fmac_f16_e32 v32, 0x38b4, v15
	v_fmac_f16_e32 v23, 0xb8b4, v15
	v_fma_f16 v15, -0.5, v25, v33
	v_sub_f16_e32 v34, v12, v14
	v_fmac_f16_e32 v33, -0.5, v27
	v_sub_f16_e32 v25, v10, v16
	v_pk_add_f16 v8, v8, v10
	v_sub_f16_sdwa v27, v10, v12 dst_sel:DWORD dst_unused:UNUSED_PAD src0_sel:WORD_1 src1_sel:WORD_1
	v_sub_f16_sdwa v10, v12, v10 dst_sel:DWORD dst_unused:UNUSED_PAD src0_sel:WORD_1 src1_sel:WORD_1
	v_fmamk_f16 v35, v34, 0x3b9c, v33
	v_sub_f16_sdwa v36, v14, v16 dst_sel:DWORD dst_unused:UNUSED_PAD src0_sel:WORD_1 src1_sel:WORD_1
	v_fmac_f16_e32 v33, 0xbb9c, v34
	v_fmac_f16_e32 v32, 0x34f2, v9
	;; [unrolled: 1-line block ×3, first 2 shown]
	v_fmamk_f16 v9, v25, 0xbb9c, v15
	v_sub_f16_sdwa v37, v16, v14 dst_sel:DWORD dst_unused:UNUSED_PAD src0_sel:WORD_1 src1_sel:WORD_1
	v_add_f16_e32 v10, v10, v36
	v_fmac_f16_e32 v15, 0x3b9c, v25
	v_fmac_f16_e32 v33, 0x38b4, v25
	;; [unrolled: 1-line block ×3, first 2 shown]
	v_add_f16_e32 v27, v27, v37
	v_pk_add_f16 v8, v8, v12
	v_fmac_f16_e32 v15, 0x38b4, v34
	v_fmac_f16_e32 v33, 0x34f2, v10
	v_mul_f16_e32 v25, 0x34f2, v23
	v_fmac_f16_e32 v9, 0xb8b4, v34
	v_pk_add_f16 v8, v8, v14
	v_fmac_f16_e32 v15, 0x34f2, v27
	v_fmac_f16_e32 v35, 0x34f2, v10
	v_fma_f16 v14, v33, 0x3b9c, -v25
	v_mul_f16_e32 v25, 0x3a79, v13
	v_fmac_f16_e32 v9, 0x34f2, v27
	v_mul_f16_e32 v10, 0x3a79, v11
	v_mul_f16_e32 v12, 0x3b9c, v35
	v_add_f16_e32 v34, v7, v14
	v_fma_f16 v25, v15, 0x38b4, -v25
	v_mul_f16_e32 v11, 0xb8b4, v11
	v_fmac_f16_e32 v10, 0x38b4, v9
	v_mul_f16_e32 v33, 0x34f2, v33
	v_sub_f16_e32 v7, v7, v14
	v_add_f16_e32 v36, v22, v25
	v_sub_f16_e32 v14, v22, v25
	v_mul_lo_u16 v22, 0xcd, v38
	v_fmac_f16_e32 v12, 0x34f2, v32
	v_pk_add_f16 v8, v8, v16
	v_add_f16_e32 v16, v29, v10
	v_mul_f16_e32 v32, 0xbb9c, v32
	v_mul_f16_e32 v15, 0x3a79, v15
	v_fmac_f16_e32 v11, 0x3a79, v9
	v_fma_f16 v9, v23, 0xbb9c, -v33
	v_sub_f16_e32 v10, v29, v10
	v_lshrrev_b16 v29, 11, v22
	v_fmac_f16_e32 v32, 0x34f2, v35
	v_fma_f16 v13, v13, 0xb8b4, -v15
	v_add_f16_e32 v23, v31, v11
	v_add_f16_e32 v35, v21, v9
	v_sub_f16_e32 v9, v21, v9
	v_mul_lo_u16 v21, v29, 10
	v_add_f16_e32 v27, v30, v12
	v_pk_add_f16 v15, v24, v8
	v_add_f16_e32 v33, v26, v32
	v_add_f16_e32 v37, v28, v13
	v_sub_f16_e32 v12, v30, v12
	v_sub_f16_e32 v11, v31, v11
	;; [unrolled: 1-line block ×4, first 2 shown]
	v_pack_b32_f16 v16, v16, v23
	v_sub_nc_u16 v30, v3, v21
	v_mov_b32_e32 v21, 9
	v_pack_b32_f16 v10, v10, v11
	v_pack_b32_f16 v11, v12, v25
	ds_write2_b32 v18, v15, v16 offset1:1
	v_pack_b32_f16 v15, v34, v35
	v_pack_b32_f16 v16, v27, v33
	;; [unrolled: 1-line block ×3, first 2 shown]
	v_mul_u32_u24_sdwa v13, v30, v21 dst_sel:DWORD dst_unused:UNUSED_PAD src0_sel:BYTE_0 src1_sel:DWORD
	v_pk_add_f16 v8, v24, v8 neg_lo:[0,1] neg_hi:[0,1]
	v_pack_b32_f16 v22, v36, v37
	v_pack_b32_f16 v7, v7, v9
	ds_write2_b32 v18, v16, v15 offset0:2 offset1:3
	ds_write2_b32 v18, v22, v8 offset0:4 offset1:5
	;; [unrolled: 1-line block ×3, first 2 shown]
	v_lshlrev_b32_e32 v15, 2, v13
	ds_write2_b32 v18, v7, v12 offset0:8 offset1:9
	s_waitcnt lgkmcnt(0)
	s_barrier
	buffer_gl0_inv
	s_clause 0x2
	global_load_dwordx4 v[7:10], v15, s[12:13]
	global_load_dwordx4 v[11:14], v15, s[12:13] offset:16
	global_load_dword v18, v15, s[12:13] offset:32
	ds_read2_b32 v[21:22], v0 offset1:130
	ds_read2_b32 v[15:16], v20 offset0:12 offset1:142
	ds_read2_b32 v[23:24], v4 offset0:16 offset1:146
	;; [unrolled: 1-line block ×4, first 2 shown]
	v_mov_b32_e32 v4, 0x190
	v_mov_b32_e32 v31, 2
	s_waitcnt vmcnt(0) lgkmcnt(0)
	s_barrier
	buffer_gl0_inv
	v_mul_u32_u24_sdwa v4, v29, v4 dst_sel:DWORD dst_unused:UNUSED_PAD src0_sel:WORD_0 src1_sel:DWORD
	v_lshlrev_b32_sdwa v29, v31, v30 dst_sel:DWORD dst_unused:UNUSED_PAD src0_sel:DWORD src1_sel:BYTE_0
	v_add3_u32 v29, 0, v4, v29
	v_lshrrev_b32_e32 v34, 16, v22
	v_lshrrev_b32_e32 v4, 16, v15
	;; [unrolled: 1-line block ×10, first 2 shown]
	v_mul_f16_sdwa v39, v7, v34 dst_sel:DWORD dst_unused:UNUSED_PAD src0_sel:WORD_1 src1_sel:DWORD
	v_mul_f16_sdwa v40, v7, v22 dst_sel:DWORD dst_unused:UNUSED_PAD src0_sel:WORD_1 src1_sel:DWORD
	;; [unrolled: 1-line block ×10, first 2 shown]
	v_mul_f16_sdwa v49, v4, v12 dst_sel:DWORD dst_unused:UNUSED_PAD src0_sel:DWORD src1_sel:WORD_1
	v_mul_f16_sdwa v50, v15, v12 dst_sel:DWORD dst_unused:UNUSED_PAD src0_sel:DWORD src1_sel:WORD_1
	;; [unrolled: 1-line block ×8, first 2 shown]
	v_fma_f16 v22, v7, v22, -v39
	v_fmac_f16_e32 v40, v7, v34
	v_fma_f16 v7, v8, v25, -v41
	v_fmac_f16_e32 v42, v8, v35
	;; [unrolled: 2-line block ×9, first 2 shown]
	v_add_f16_e32 v15, v9, v11
	v_add_f16_e32 v25, v7, v12
	v_sub_f16_e32 v26, v9, v7
	v_sub_f16_e32 v27, v11, v12
	;; [unrolled: 1-line block ×4, first 2 shown]
	v_add_f16_e32 v38, v22, v8
	v_add_f16_e32 v39, v10, v4
	v_add_f16_e32 v53, v40, v44
	v_add_f16_e32 v55, v48, v52
	v_add_f16_e32 v47, v8, v13
	v_add_f16_e32 v60, v44, v56
	v_add_f16_e32 v14, v21, v7
	v_sub_f16_e32 v23, v7, v9
	v_sub_f16_e32 v24, v12, v11
	v_add_f16_e32 v28, v30, v42
	v_sub_f16_e32 v36, v46, v42
	v_sub_f16_e32 v37, v50, v54
	;; [unrolled: 1-line block ×7, first 2 shown]
	v_fma_f16 v62, -0.5, v15, v21
	v_fmac_f16_e32 v21, -0.5, v25
	v_add_f16_e32 v15, v26, v27
	v_add_f16_e32 v25, v33, v34
	;; [unrolled: 1-line block ×3, first 2 shown]
	v_fma_f16 v27, -0.5, v39, v22
	v_add_f16_e32 v33, v53, v48
	v_fma_f16 v34, -0.5, v55, v40
	v_sub_f16_e32 v16, v42, v54
	v_add_f16_e32 v35, v42, v54
	v_sub_f16_e32 v42, v48, v52
	v_sub_f16_e32 v45, v13, v4
	;; [unrolled: 1-line block ×5, first 2 shown]
	v_fmac_f16_e32 v22, -0.5, v47
	v_fmac_f16_e32 v40, -0.5, v60
	v_sub_f16_e32 v18, v46, v50
	v_add_f16_e32 v31, v46, v50
	v_sub_f16_e32 v32, v9, v11
	v_sub_f16_e32 v51, v4, v13
	;; [unrolled: 1-line block ×3, first 2 shown]
	v_add_f16_e32 v9, v14, v9
	v_add_f16_e32 v14, v23, v24
	;; [unrolled: 1-line block ×5, first 2 shown]
	v_fmamk_f16 v37, v41, 0x3b9c, v27
	v_add_f16_e32 v10, v33, v52
	v_fmamk_f16 v33, v8, 0xbb9c, v34
	v_add_f16_e32 v28, v43, v45
	v_add_f16_e32 v36, v44, v61
	v_fmamk_f16 v44, v42, 0xbb9c, v22
	v_fmac_f16_e32 v22, 0x3b9c, v42
	v_fmamk_f16 v45, v57, 0x3b9c, v40
	v_fmac_f16_e32 v40, 0xbb9c, v57
	v_fmac_f16_e32 v27, 0xbb9c, v41
	;; [unrolled: 1-line block ×3, first 2 shown]
	v_sub_f16_e32 v7, v7, v12
	v_fma_f16 v24, -0.5, v31, v30
	v_fmac_f16_e32 v30, -0.5, v35
	v_add_f16_e32 v35, v58, v59
	v_add_f16_e32 v9, v9, v11
	v_fmamk_f16 v38, v18, 0xbb9c, v21
	v_fmac_f16_e32 v21, 0x3b9c, v18
	v_add_f16_e32 v23, v23, v50
	v_fmac_f16_e32 v37, 0x38b4, v42
	v_fmac_f16_e32 v33, 0xb8b4, v57
	v_add_f16_e32 v31, v49, v51
	v_fmamk_f16 v11, v16, 0x3b9c, v62
	v_fmac_f16_e32 v62, 0xbb9c, v16
	v_fmac_f16_e32 v44, 0x38b4, v41
	;; [unrolled: 1-line block ×7, first 2 shown]
	v_fmamk_f16 v39, v7, 0xbb9c, v24
	v_add_f16_e32 v9, v9, v12
	v_fmac_f16_e32 v38, 0x38b4, v16
	v_fmac_f16_e32 v21, 0xb8b4, v16
	v_add_f16_e32 v12, v23, v54
	v_add_f16_e32 v16, v10, v56
	v_fmac_f16_e32 v37, 0x34f2, v28
	v_fmac_f16_e32 v33, 0x34f2, v35
	v_fmamk_f16 v43, v32, 0x3b9c, v30
	v_fmac_f16_e32 v30, 0xbb9c, v32
	v_fmac_f16_e32 v11, 0x38b4, v18
	;; [unrolled: 1-line block ×3, first 2 shown]
	v_add_f16_e32 v13, v4, v13
	v_fmac_f16_e32 v44, 0x34f2, v31
	v_fmac_f16_e32 v22, 0x34f2, v31
	;; [unrolled: 1-line block ×8, first 2 shown]
	v_add_f16_e32 v4, v12, v16
	v_sub_f16_e32 v35, v12, v16
	v_mul_f16_e32 v12, 0x38b4, v33
	v_mul_f16_e32 v18, 0xb8b4, v37
	v_fmac_f16_e32 v43, 0xb8b4, v7
	v_fmac_f16_e32 v30, 0x38b4, v7
	;; [unrolled: 1-line block ×4, first 2 shown]
	v_add_f16_e32 v7, v9, v13
	v_sub_f16_e32 v10, v9, v13
	v_mul_f16_e32 v14, 0x3b9c, v45
	v_mul_f16_e32 v8, 0x34f2, v22
	;; [unrolled: 1-line block ×4, first 2 shown]
	v_fmac_f16_e32 v24, 0x38b4, v32
	v_fmac_f16_e32 v38, 0x34f2, v15
	v_fmac_f16_e32 v21, 0x34f2, v15
	v_mul_f16_e32 v9, 0x3a79, v27
	v_mul_f16_e32 v15, 0x3a79, v34
	v_fmac_f16_e32 v39, 0x34f2, v25
	v_fmac_f16_e32 v12, 0x3a79, v37
	;; [unrolled: 1-line block ×6, first 2 shown]
	v_fma_f16 v28, v40, 0x3b9c, -v8
	v_fmac_f16_e32 v23, 0x34f2, v45
	v_fma_f16 v22, v22, 0xbb9c, -v13
	v_fmac_f16_e32 v24, 0x34f2, v25
	v_fma_f16 v31, v34, 0x38b4, -v9
	v_fma_f16 v27, v27, 0xb8b4, -v15
	v_add_f16_e32 v8, v11, v12
	v_add_f16_e32 v32, v39, v18
	;; [unrolled: 1-line block ×8, first 2 shown]
	v_sub_f16_e32 v13, v11, v12
	v_sub_f16_e32 v14, v38, v14
	;; [unrolled: 1-line block ×8, first 2 shown]
	v_pack_b32_f16 v25, v7, v4
	v_pack_b32_f16 v18, v8, v32
	;; [unrolled: 1-line block ×10, first 2 shown]
	ds_write2_b32 v29, v25, v18 offset1:10
	ds_write2_b32 v29, v21, v22 offset0:20 offset1:30
	ds_write2_b32 v29, v23, v26 offset0:40 offset1:50
	;; [unrolled: 1-line block ×4, first 2 shown]
	s_waitcnt lgkmcnt(0)
	s_barrier
	buffer_gl0_inv
                                        ; implicit-def: $vgpr34
                                        ; implicit-def: $vgpr22
                                        ; implicit-def: $vgpr42
                                        ; implicit-def: $vgpr18
                                        ; implicit-def: $vgpr41
	s_and_saveexec_b32 s1, s0
	s_cbranch_execz .LBB0_15
; %bb.14:
	v_add_nc_u32_e32 v4, 0xe00, v0
	v_add_nc_u32_e32 v15, 0x200, v0
	ds_read2_b32 v[7:8], v0 offset1:100
	ds_read2_b32 v[11:12], v20 offset0:32 offset1:132
	ds_read_b32 v22, v0 offset:4800
	ds_read2_b32 v[9:10], v17 offset0:144 offset1:244
	ds_read2_b32 v[13:14], v19 offset0:88 offset1:188
	;; [unrolled: 1-line block ×4, first 2 shown]
	s_waitcnt lgkmcnt(6)
	v_lshrrev_b32_e32 v4, 16, v7
	s_waitcnt lgkmcnt(5)
	v_lshrrev_b32_e32 v36, 16, v11
	v_lshrrev_b32_e32 v28, 16, v12
	s_waitcnt lgkmcnt(4)
	v_lshrrev_b32_e32 v34, 16, v22
	;; [unrolled: 3-line block ×4, first 2 shown]
	s_waitcnt lgkmcnt(1)
	v_lshrrev_b32_e32 v41, 16, v17
	v_lshrrev_b32_e32 v42, 16, v18
	s_waitcnt lgkmcnt(0)
	v_lshrrev_b32_e32 v33, 16, v15
	v_lshrrev_b32_e32 v40, 16, v16
	;; [unrolled: 1-line block ×3, first 2 shown]
.LBB0_15:
	s_or_b32 exec_lo, exec_lo, s1
	s_barrier
	buffer_gl0_inv
	s_and_saveexec_b32 s1, s0
	s_cbranch_execz .LBB0_17
; %bb.16:
	v_add_nc_u32_e32 v19, 0xffffff9c, v3
	v_mov_b32_e32 v20, 0
	v_cndmask_b32_e64 v19, v19, v3, s0
	v_mul_i32_i24_e32 v19, 12, v19
	v_lshlrev_b64 v[19:20], 2, v[19:20]
	v_add_co_u32 v19, s0, s12, v19
	v_add_co_ci_u32_e64 v20, s0, s13, v20, s0
	s_clause 0x2
	global_load_dwordx4 v[43:46], v[19:20], off offset:360
	global_load_dwordx4 v[47:50], v[19:20], off offset:392
	;; [unrolled: 1-line block ×3, first 2 shown]
	s_waitcnt vmcnt(2)
	v_mul_f16_sdwa v55, v32, v43 dst_sel:DWORD dst_unused:UNUSED_PAD src0_sel:DWORD src1_sel:WORD_1
	s_waitcnt vmcnt(1)
	v_mul_f16_sdwa v56, v34, v50 dst_sel:DWORD dst_unused:UNUSED_PAD src0_sel:DWORD src1_sel:WORD_1
	v_mul_f16_sdwa v20, v18, v49 dst_sel:DWORD dst_unused:UNUSED_PAD src0_sel:DWORD src1_sel:WORD_1
	;; [unrolled: 1-line block ×6, first 2 shown]
	s_waitcnt vmcnt(0)
	v_mul_f16_sdwa v24, v11, v54 dst_sel:DWORD dst_unused:UNUSED_PAD src0_sel:DWORD src1_sel:WORD_1
	v_fma_f16 v22, v22, v50, -v56
	v_fmac_f16_e32 v20, v42, v49
	v_fma_f16 v42, v8, v43, -v55
	v_mul_f16_sdwa v31, v15, v44 dst_sel:DWORD dst_unused:UNUSED_PAD src0_sel:DWORD src1_sel:WORD_1
	v_mul_f16_sdwa v60, v40, v45 dst_sel:DWORD dst_unused:UNUSED_PAD src0_sel:DWORD src1_sel:WORD_1
	;; [unrolled: 1-line block ×6, first 2 shown]
	v_fmac_f16_e32 v19, v34, v50
	v_fmac_f16_e32 v57, v32, v43
	v_fma_f16 v34, v15, v44, -v58
	v_fma_f16 v15, v18, v49, -v59
	v_fmac_f16_e32 v24, v36, v54
	v_sub_f16_e32 v36, v42, v22
	v_mul_f16_sdwa v62, v37, v46 dst_sel:DWORD dst_unused:UNUSED_PAD src0_sel:DWORD src1_sel:WORD_1
	v_mul_f16_sdwa v21, v17, v48 dst_sel:DWORD dst_unused:UNUSED_PAD src0_sel:DWORD src1_sel:WORD_1
	;; [unrolled: 1-line block ×8, first 2 shown]
	v_fmac_f16_e32 v31, v33, v44
	v_fma_f16 v33, v16, v45, -v60
	v_fma_f16 v16, v17, v48, -v61
	v_fmac_f16_e32 v30, v37, v46
	v_fma_f16 v17, v11, v54, -v65
	v_fmac_f16_e32 v26, v38, v52
	v_add_f16_e32 v11, v57, v19
	v_sub_f16_e32 v37, v34, v15
	v_sub_f16_e32 v38, v57, v19
	v_mul_f16_e32 v60, 0xb94e, v36
	v_fma_f16 v32, v9, v46, -v62
	v_add_f16_e32 v46, v7, v42
	v_mul_f16_sdwa v27, v10, v51 dst_sel:DWORD dst_unused:UNUSED_PAD src0_sel:DWORD src1_sel:WORD_1
	v_mul_f16_sdwa v67, v39, v53 dst_sel:DWORD dst_unused:UNUSED_PAD src0_sel:DWORD src1_sel:WORD_1
	v_fma_f16 v12, v12, v47, -v63
	v_fmac_f16_e32 v23, v28, v47
	v_fma_f16 v28, v10, v51, -v64
	v_fmac_f16_e32 v25, v39, v53
	v_add_f16_e32 v8, v31, v20
	v_add_f16_e32 v10, v42, v22
	v_sub_f16_e32 v39, v31, v20
	v_add_f16_e32 v47, v4, v57
	v_mul_f16_e32 v56, 0xb3a8, v36
	v_mul_f16_e32 v61, 0x3bf1, v37
	;; [unrolled: 1-line block ×4, first 2 shown]
	v_fmamk_f16 v88, v11, 0xb9fd, v60
	v_fmac_f16_e32 v21, v41, v48
	v_fmac_f16_e32 v29, v40, v45
	v_add_f16_e32 v9, v34, v15
	v_mul_f16_e32 v58, 0xb3a8, v38
	v_add_f16_e32 v34, v46, v34
	v_fma_f16 v18, v13, v52, -v66
	v_mul_f16_e32 v57, 0x3770, v37
	v_mul_f16_e32 v63, 0x3bf1, v39
	;; [unrolled: 1-line block ×5, first 2 shown]
	v_add_f16_e32 v31, v47, v31
	v_mul_f16_e32 v47, 0xba95, v36
	v_fmamk_f16 v84, v11, 0xbbc4, v56
	v_fmamk_f16 v89, v8, 0x2fb7, v61
	v_fma_f16 v90, v10, 0xb9fd, -v62
	v_fmamk_f16 v92, v11, 0xb5ac, v64
	v_add_f16_e32 v88, v4, v88
	v_fmac_f16_e32 v27, v35, v51
	v_sub_f16_e32 v48, v33, v16
	v_sub_f16_e32 v49, v29, v21
	v_add_f16_e32 v35, v33, v16
	v_mul_f16_e32 v59, 0x3770, v39
	v_fma_f16 v86, v10, 0xbbc4, -v58
	v_add_f16_e32 v33, v34, v33
	v_fma_f16 v13, v14, v53, -v67
	v_add_f16_e32 v14, v29, v21
	v_mul_f16_e32 v67, 0x394e, v39
	v_mul_f16_e32 v69, 0xb3a8, v37
	;; [unrolled: 1-line block ×5, first 2 shown]
	v_fmamk_f16 v85, v8, 0x3b15, v57
	v_fma_f16 v91, v9, 0x2fb7, -v63
	v_fmamk_f16 v93, v8, 0xb9fd, v65
	v_add_f16_e32 v29, v31, v29
	v_fma_f16 v31, v10, 0xb5ac, -v66
	v_fmamk_f16 v34, v11, 0x2fb7, v68
	v_add_f16_e32 v84, v4, v84
	v_add_f16_e32 v90, v7, v90
	;; [unrolled: 1-line block ×4, first 2 shown]
	v_fmamk_f16 v89, v11, 0x388b, v47
	v_fma_f16 v68, v11, 0x2fb7, -v68
	v_sub_f16_e32 v50, v32, v12
	v_add_f16_e32 v41, v32, v12
	v_mul_f16_e32 v75, 0xb94e, v49
	v_fma_f16 v87, v9, 0x3b15, -v59
	v_add_f16_e32 v32, v33, v32
	v_add_f16_e32 v86, v7, v86
	v_add_f16_e32 v40, v30, v23
	v_sub_f16_e32 v51, v30, v23
	v_mul_f16_e32 v46, 0xb3a8, v39
	v_mul_f16_e32 v73, 0xbb7b, v39
	;; [unrolled: 1-line block ×5, first 2 shown]
	v_add_f16_e32 v29, v29, v30
	v_fma_f16 v30, v9, 0xb9fd, -v67
	v_fmamk_f16 v33, v8, 0xbbc4, v69
	v_add_f16_e32 v84, v85, v84
	v_fma_f16 v85, v10, 0x2fb7, -v70
	v_add_f16_e32 v90, v91, v90
	v_fmamk_f16 v91, v8, 0xb5ac, v71
	v_add_f16_e32 v31, v7, v31
	v_add_f16_e32 v92, v93, v92
	v_fma_f16 v93, v10, 0x388b, -v72
	v_add_f16_e32 v34, v4, v34
	v_add_f16_e32 v89, v4, v89
	v_fma_f16 v69, v8, 0xbbc4, -v69
	v_add_f16_e32 v68, v4, v68
	v_sub_f16_e32 v54, v28, v17
	v_add_f16_e32 v45, v28, v17
	v_mul_f16_e32 v78, 0x3770, v48
	v_add_f16_e32 v86, v87, v86
	v_add_f16_e32 v28, v32, v28
	v_fma_f16 v32, v35, 0xb9fd, -v75
	v_mul_f16_e32 v37, 0xba95, v37
	v_mul_f16_e32 v39, 0xba95, v39
	;; [unrolled: 1-line block ×3, first 2 shown]
	v_fma_f16 v87, v9, 0xbbc4, -v46
	v_add_f16_e32 v85, v7, v85
	v_add_f16_e32 v30, v30, v31
	v_fma_f16 v31, v9, 0xb5ac, -v73
	v_add_f16_e32 v33, v33, v34
	v_fmamk_f16 v34, v11, 0x3b15, v36
	v_add_f16_e32 v93, v7, v93
	v_add_f16_e32 v89, v91, v89
	v_fma_f16 v91, v10, 0x3b15, -v38
	v_add_f16_e32 v68, v69, v68
	v_fmamk_f16 v69, v14, 0xb9fd, v74
	v_mul_f16_e32 v81, 0x3b7b, v49
	v_fma_f16 v56, v11, 0xbbc4, -v56
	v_add_f16_e32 v32, v32, v86
	v_fmamk_f16 v86, v14, 0x3b15, v78
	v_mul_f16_e32 v76, 0xba95, v48
	v_mul_f16_e32 v80, 0x3b7b, v48
	v_add_f16_e32 v85, v87, v85
	v_fmamk_f16 v87, v8, 0x388b, v37
	v_add_f16_e32 v34, v4, v34
	v_add_f16_e32 v31, v31, v93
	v_fma_f16 v93, v9, 0x388b, -v39
	v_add_f16_e32 v91, v7, v91
	v_fmac_f16_e32 v58, 0xbbc4, v10
	v_fma_f16 v60, v11, 0xb9fd, -v60
	v_add_f16_e32 v69, v69, v84
	v_fma_f16 v84, v35, 0x388b, -v77
	v_mul_f16_e32 v82, 0xb3a8, v48
	v_mul_f16_e32 v48, 0xbbf1, v48
	v_fma_f16 v57, v8, 0x3b15, -v57
	v_add_f16_e32 v56, v4, v56
	v_fmac_f16_e32 v62, 0xb9fd, v10
	v_fma_f16 v64, v11, 0xb5ac, -v64
	v_fmac_f16_e32 v66, 0xb5ac, v10
	v_add_f16_e32 v86, v86, v92
	v_fma_f16 v92, v35, 0xb5ac, -v81
	v_add_f16_e32 v44, v27, v24
	v_sub_f16_e32 v55, v27, v24
	v_mul_f16_e32 v79, 0x3770, v49
	v_add_f16_e32 v34, v87, v34
	v_mul_f16_e32 v87, 0x3a95, v50
	v_add_f16_e32 v91, v93, v91
	v_mul_f16_e32 v93, 0x3a95, v51
	v_fmac_f16_e32 v59, 0x3b15, v9
	v_add_f16_e32 v58, v7, v58
	v_fma_f16 v61, v8, 0x2fb7, -v61
	v_add_f16_e32 v60, v4, v60
	v_add_f16_e32 v27, v29, v27
	v_fmamk_f16 v29, v14, 0x388b, v76
	v_add_f16_e32 v84, v84, v90
	v_fmamk_f16 v90, v14, 0xb5ac, v80
	v_fma_f16 v80, v14, 0xb5ac, -v80
	v_mul_f16_e32 v83, 0xb3a8, v49
	v_mul_f16_e32 v49, 0xbbf1, v49
	v_add_f16_e32 v56, v57, v56
	v_mul_f16_e32 v57, 0x33a8, v50
	v_fmac_f16_e32 v63, 0x2fb7, v9
	v_add_f16_e32 v62, v7, v62
	v_fma_f16 v65, v8, 0xb9fd, -v65
	v_add_f16_e32 v64, v4, v64
	v_fmac_f16_e32 v67, 0xb9fd, v9
	v_add_f16_e32 v66, v7, v66
	v_add_f16_e32 v85, v92, v85
	v_fmamk_f16 v92, v14, 0x2fb7, v48
	v_sub_f16_e32 v52, v18, v13
	v_add_f16_e32 v42, v18, v13
	v_add_f16_e32 v58, v59, v58
	v_mul_f16_e32 v59, 0x33a8, v51
	v_add_f16_e32 v60, v61, v60
	v_mul_f16_e32 v61, 0xbbf1, v50
	v_add_f16_e32 v29, v29, v88
	v_fma_f16 v88, v35, 0x3b15, -v79
	v_add_f16_e32 v68, v80, v68
	v_fmamk_f16 v80, v40, 0x388b, v87
	v_add_f16_e32 v18, v28, v18
	v_fma_f16 v28, v41, 0x388b, -v93
	v_add_f16_e32 v43, v26, v25
	v_sub_f16_e32 v53, v26, v25
	v_add_f16_e32 v62, v63, v62
	v_mul_f16_e32 v63, 0xbbf1, v51
	v_add_f16_e32 v64, v65, v64
	v_add_f16_e32 v66, v67, v66
	v_add_f16_e32 v34, v92, v34
	v_fma_f16 v92, v35, 0x2fb7, -v49
	v_fma_f16 v74, v14, 0xb9fd, -v74
	v_fmac_f16_e32 v75, 0xb9fd, v35
	v_fma_f16 v78, v14, 0x3b15, -v78
	v_fmac_f16_e32 v79, 0x3b15, v35
	v_add_f16_e32 v26, v27, v26
	v_fmamk_f16 v27, v40, 0xbbc4, v57
	v_mul_f16_e32 v65, 0x3770, v50
	v_mul_f16_e32 v67, 0x3770, v51
	v_add_f16_e32 v30, v88, v30
	v_fmamk_f16 v88, v14, 0xbbc4, v82
	v_add_f16_e32 v33, v90, v33
	v_fma_f16 v90, v35, 0xbbc4, -v83
	v_add_f16_e32 v69, v80, v69
	v_fma_f16 v80, v41, 0xbbc4, -v59
	v_add_f16_e32 v28, v28, v32
	v_fmamk_f16 v32, v40, 0x2fb7, v61
	v_add_f16_e32 v91, v92, v91
	v_mul_f16_e32 v92, 0xbb7b, v54
	v_fma_f16 v76, v14, 0x388b, -v76
	v_add_f16_e32 v56, v74, v56
	v_mul_f16_e32 v74, 0xbb7b, v55
	v_add_f16_e32 v58, v75, v58
	v_add_f16_e32 v64, v78, v64
	;; [unrolled: 1-line block ×4, first 2 shown]
	v_fma_f16 v29, v41, 0x2fb7, -v63
	v_fma_f16 v87, v40, 0x388b, -v87
	v_fmac_f16_e32 v93, 0x388b, v41
	v_fma_f16 v61, v40, 0x2fb7, -v61
	v_fmac_f16_e32 v63, 0x2fb7, v41
	v_add_f16_e32 v88, v88, v89
	v_mul_f16_e32 v89, 0x394e, v50
	v_add_f16_e32 v31, v90, v31
	v_mul_f16_e32 v90, 0x394e, v51
	v_mul_f16_e32 v50, 0xbb7b, v50
	;; [unrolled: 1-line block ×3, first 2 shown]
	v_fmac_f16_e32 v77, 0x388b, v35
	v_add_f16_e32 v80, v80, v84
	v_fmamk_f16 v84, v40, 0x3b15, v65
	v_add_f16_e32 v32, v32, v86
	v_fma_f16 v86, v41, 0x3b15, -v67
	v_fma_f16 v65, v40, 0x3b15, -v65
	v_add_f16_e32 v60, v76, v60
	v_add_f16_e32 v13, v18, v13
	v_add_f16_e32 v25, v26, v25
	v_mul_f16_e32 v26, 0x3bf1, v53
	v_fma_f16 v57, v40, 0xbbc4, -v57
	v_add_f16_e32 v56, v87, v56
	v_add_f16_e32 v58, v93, v58
	;; [unrolled: 1-line block ×3, first 2 shown]
	v_fmamk_f16 v64, v44, 0xb5ac, v92
	v_add_f16_e32 v63, v63, v66
	v_fma_f16 v66, v45, 0xb5ac, -v74
	v_fma_f16 v92, v44, 0xb5ac, -v92
	v_fmac_f16_e32 v74, 0xb5ac, v45
	v_mul_f16_e32 v51, 0xbb7b, v51
	v_mul_f16_e32 v76, 0x3770, v55
	v_add_f16_e32 v62, v77, v62
	v_mul_f16_e32 v77, 0x33a8, v54
	v_mul_f16_e32 v78, 0x33a8, v55
	v_add_f16_e32 v29, v29, v30
	v_fmamk_f16 v30, v40, 0xb9fd, v89
	v_add_f16_e32 v33, v84, v33
	v_fma_f16 v84, v41, 0xb9fd, -v90
	v_add_f16_e32 v85, v86, v85
	v_fmamk_f16 v86, v40, 0xb5ac, v50
	v_add_f16_e32 v65, v65, v68
	v_fmamk_f16 v68, v44, 0x3b15, v75
	v_mul_f16_e32 v87, 0xbb7b, v52
	v_add_f16_e32 v57, v57, v60
	v_add_f16_e32 v13, v13, v17
	v_fma_f16 v75, v44, 0x3b15, -v75
	v_add_f16_e32 v24, v25, v24
	v_add_f16_e32 v56, v92, v56
	v_fma_f16 v92, v42, 0x2fb7, -v26
	v_add_f16_e32 v58, v74, v58
	v_fmac_f16_e32 v70, 0x2fb7, v10
	v_fmac_f16_e32 v26, 0x2fb7, v42
	v_mul_f16_e32 v79, 0xba95, v54
	v_add_f16_e32 v30, v30, v88
	v_fma_f16 v88, v41, 0xb5ac, -v51
	v_add_f16_e32 v31, v84, v31
	v_mul_f16_e32 v84, 0xba95, v55
	v_add_f16_e32 v34, v86, v34
	v_mul_f16_e32 v86, 0x3bf1, v54
	v_add_f16_e32 v64, v64, v69
	v_fma_f16 v69, v45, 0x3b15, -v76
	v_add_f16_e32 v28, v66, v28
	v_fmamk_f16 v66, v44, 0xbbc4, v77
	v_add_f16_e32 v27, v68, v27
	v_fma_f16 v68, v45, 0xbbc4, -v78
	v_fmamk_f16 v74, v43, 0xb5ac, v87
	v_add_f16_e32 v57, v75, v57
	v_fma_f16 v87, v43, 0xb5ac, -v87
	v_fmac_f16_e32 v46, 0xbbc4, v9
	v_add_f16_e32 v70, v7, v70
	v_add_f16_e32 v12, v13, v12
	;; [unrolled: 1-line block ×4, first 2 shown]
	v_fma_f16 v26, v11, 0x388b, -v47
	v_fmac_f16_e32 v72, 0x388b, v10
	v_fma_f16 v11, v11, 0x3b15, -v36
	v_fmac_f16_e32 v38, 0x3b15, v10
	v_add_f16_e32 v88, v88, v91
	v_mul_f16_e32 v91, 0x3bf1, v55
	v_mul_f16_e32 v54, 0xb94e, v54
	;; [unrolled: 1-line block ×3, first 2 shown]
	v_add_f16_e32 v69, v69, v80
	v_fmamk_f16 v80, v44, 0x388b, v79
	v_add_f16_e32 v32, v66, v32
	v_fma_f16 v66, v45, 0x388b, -v84
	v_add_f16_e32 v29, v68, v29
	v_fmamk_f16 v68, v44, 0x2fb7, v86
	v_add_f16_e32 v24, v87, v57
	v_add_f16_e32 v46, v46, v70
	v_fmac_f16_e32 v81, 0xb5ac, v35
	v_add_f16_e32 v26, v4, v26
	v_fma_f16 v57, v8, 0xb5ac, -v71
	v_add_f16_e32 v10, v7, v72
	v_fmac_f16_e32 v73, 0xb5ac, v9
	v_add_f16_e32 v4, v4, v11
	v_fma_f16 v8, v8, 0x388b, -v37
	v_add_f16_e32 v7, v7, v38
	v_fmac_f16_e32 v39, 0x388b, v9
	v_mul_f16_e32 v18, 0x3bf1, v52
	v_mul_f16_e32 v93, 0xbb7b, v53
	v_fmac_f16_e32 v59, 0xbbc4, v41
	v_add_f16_e32 v33, v80, v33
	v_fma_f16 v80, v45, 0x2fb7, -v91
	v_add_f16_e32 v66, v66, v85
	v_fmamk_f16 v85, v44, 0xb9fd, v54
	v_add_f16_e32 v30, v68, v30
	v_fma_f16 v68, v45, 0xb9fd, -v55
	v_add_f16_e32 v12, v12, v16
	v_add_f16_e32 v16, v81, v46
	v_add_f16_e32 v26, v57, v26
	v_fma_f16 v46, v14, 0xbbc4, -v82
	v_add_f16_e32 v9, v73, v10
	v_fmac_f16_e32 v83, 0xbbc4, v35
	v_add_f16_e32 v4, v8, v4
	v_fma_f16 v8, v14, 0x2fb7, -v48
	v_add_f16_e32 v7, v39, v7
	v_fmac_f16_e32 v49, 0x2fb7, v35
	v_mul_f16_e32 v60, 0x3a95, v52
	v_add_f16_e32 v59, v59, v62
	v_mul_f16_e32 v62, 0x3a95, v53
	v_add_f16_e32 v31, v80, v31
	;; [unrolled: 2-line block ×4, first 2 shown]
	v_mul_f16_e32 v88, 0x3770, v52
	v_mul_f16_e32 v17, 0x3770, v53
	v_mul_f16_e32 v52, 0xb3a8, v52
	v_mul_f16_e32 v53, 0xb3a8, v53
	v_fmamk_f16 v25, v43, 0x2fb7, v18
	v_fma_f16 v75, v42, 0xb5ac, -v93
	v_add_f16_e32 v13, v13, v21
	v_fmac_f16_e32 v78, 0xbbc4, v45
	v_fma_f16 v79, v44, 0x388b, -v79
	v_add_f16_e32 v12, v12, v15
	v_fmac_f16_e32 v67, 0x3b15, v41
	v_add_f16_e32 v15, v46, v26
	v_fma_f16 v21, v40, 0xb9fd, -v89
	v_add_f16_e32 v9, v83, v9
	v_fmac_f16_e32 v90, 0xb9fd, v41
	v_add_f16_e32 v4, v8, v4
	v_fma_f16 v8, v40, 0xb5ac, -v50
	v_add_f16_e32 v7, v49, v7
	v_fmac_f16_e32 v51, 0xb5ac, v41
	v_fmac_f16_e32 v76, 0x3b15, v45
	v_fma_f16 v77, v44, 0xbbc4, -v77
	v_add_f16_e32 v25, v25, v64
	v_fmamk_f16 v64, v43, 0x3b15, v88
	v_add_f16_e32 v27, v74, v27
	v_fmamk_f16 v74, v43, 0xbbc4, v52
	v_add_f16_e32 v69, v75, v69
	v_fma_f16 v75, v42, 0xbbc4, -v53
	v_add_f16_e32 v13, v13, v20
	v_add_f16_e32 v63, v78, v63
	v_fmamk_f16 v78, v43, 0xb9fd, v80
	v_add_f16_e32 v65, v79, v65
	v_fma_f16 v79, v42, 0xb9fd, -v85
	v_add_f16_e32 v28, v92, v28
	v_fma_f16 v92, v42, 0x3b15, -v17
	v_fma_f16 v18, v43, 0x2fb7, -v18
	v_add_f16_e32 v16, v67, v16
	v_fmac_f16_e32 v84, 0x388b, v45
	v_add_f16_e32 v15, v21, v15
	v_fma_f16 v21, v44, 0x2fb7, -v86
	v_add_f16_e32 v9, v90, v9
	v_fmac_f16_e32 v91, 0x2fb7, v45
	v_add_f16_e32 v4, v8, v4
	;; [unrolled: 4-line block ×3, first 2 shown]
	v_fmamk_f16 v76, v43, 0x388b, v60
	v_add_f16_e32 v61, v77, v61
	v_fma_f16 v77, v42, 0x388b, -v62
	v_add_f16_e32 v30, v64, v30
	v_add_f16_e32 v34, v74, v34
	;; [unrolled: 1-line block ×8, first 2 shown]
	v_fmac_f16_e32 v93, 0xb5ac, v42
	v_add_f16_e32 v18, v18, v56
	v_fma_f16 v56, v43, 0x388b, -v60
	v_fmac_f16_e32 v62, 0x388b, v42
	v_fma_f16 v20, v43, 0xb9fd, -v80
	v_add_f16_e32 v16, v84, v16
	v_fmac_f16_e32 v85, 0xb9fd, v42
	v_add_f16_e32 v15, v21, v15
	v_fma_f16 v21, v43, 0x3b15, -v88
	v_add_f16_e32 v9, v91, v9
	v_fmac_f16_e32 v17, 0x3b15, v42
	v_add_f16_e32 v4, v8, v4
	;; [unrolled: 4-line block ×3, first 2 shown]
	v_add_f16_e32 v29, v77, v29
	v_pack_b32_f16 v10, v12, v13
	v_pack_b32_f16 v11, v64, v34
	;; [unrolled: 1-line block ×4, first 2 shown]
	v_add_nc_u32_e32 v14, 0x200, v0
	v_add_f16_e32 v47, v93, v59
	v_add_f16_e32 v56, v56, v61
	;; [unrolled: 1-line block ×9, first 2 shown]
	ds_write2_b32 v0, v10, v11 offset1:100
	ds_write2_b32 v14, v12, v13 offset0:72 offset1:172
	v_pack_b32_f16 v8, v29, v32
	v_pack_b32_f16 v10, v69, v27
	v_add_nc_u32_e32 v11, 0x400, v0
	v_pack_b32_f16 v12, v28, v25
	v_pack_b32_f16 v13, v23, v18
	v_add_nc_u32_e32 v14, 0x800, v0
	;; [unrolled: 3-line block ×4, first 2 shown]
	v_pack_b32_f16 v4, v7, v4
	ds_write2_b32 v11, v8, v10 offset0:144 offset1:244
	ds_write2_b32 v14, v12, v13 offset0:88 offset1:188
	;; [unrolled: 1-line block ×4, first 2 shown]
	ds_write_b32 v0, v4 offset:4800
.LBB0_17:
	s_or_b32 exec_lo, exec_lo, s1
	s_waitcnt lgkmcnt(0)
	s_barrier
	buffer_gl0_inv
	ds_read_b32 v13, v0
	v_lshlrev_b32_e32 v4, 2, v3
	s_add_u32 s1, s12, 0x1428
	s_addc_u32 s4, s13, 0
	s_mov_b32 s5, exec_lo
                                        ; implicit-def: $vgpr12
                                        ; implicit-def: $vgpr11
                                        ; implicit-def: $vgpr10
                                        ; implicit-def: $vgpr7_vgpr8
	v_sub_nc_u32_e32 v9, 0, v4
	v_cmpx_ne_u32_e32 0, v3
	s_xor_b32 s5, exec_lo, s5
	s_cbranch_execz .LBB0_19
; %bb.18:
	v_mov_b32_e32 v4, 0
	v_lshlrev_b64 v[7:8], 2, v[3:4]
	v_add_co_u32 v7, s0, s1, v7
	v_add_co_ci_u32_e64 v8, s0, s4, v8, s0
	global_load_dword v7, v[7:8], off
	ds_read_b32 v8, v9 offset:5200
	s_waitcnt lgkmcnt(0)
	v_pk_add_f16 v10, v13, v8 neg_lo:[0,1] neg_hi:[0,1]
	v_pk_add_f16 v8, v8, v13
                                        ; implicit-def: $vgpr13
	v_bfi_b32 v11, 0xffff, v10, v8
	v_bfi_b32 v8, 0xffff, v8, v10
	v_pk_mul_f16 v11, v11, 0.5 op_sel_hi:[1,0]
	v_pk_mul_f16 v12, v8, 0.5 op_sel_hi:[1,0]
	s_waitcnt vmcnt(0)
	v_pk_mul_f16 v10, v7, v11 op_sel:[1,0]
	v_pk_mul_f16 v7, v7, v11 op_sel_hi:[0,1]
	v_pk_fma_f16 v8, v8, 0.5, v10 op_sel_hi:[1,0,1]
	v_sub_f16_e32 v11, v12, v10
	v_sub_f16_sdwa v10, v10, v12 dst_sel:DWORD dst_unused:UNUSED_PAD src0_sel:WORD_1 src1_sel:WORD_1
	v_pk_add_f16 v12, v8, v7 op_sel:[0,1] op_sel_hi:[1,0]
	v_pk_add_f16 v8, v8, v7 op_sel:[0,1] op_sel_hi:[1,0] neg_lo:[0,1] neg_hi:[0,1]
	v_sub_f16_sdwa v11, v11, v7 dst_sel:DWORD dst_unused:UNUSED_PAD src0_sel:DWORD src1_sel:WORD_1
	v_sub_f16_e32 v10, v10, v7
	v_bfi_b32 v12, 0xffff, v12, v8
	v_mov_b32_e32 v8, v4
	v_mov_b32_e32 v7, v3
.LBB0_19:
	s_andn2_saveexec_b32 s0, s5
	s_cbranch_execz .LBB0_21
; %bb.20:
	v_mov_b32_e32 v10, 0
	s_waitcnt lgkmcnt(0)
	v_alignbit_b32 v7, s0, v13, 16
	v_sub_f16_sdwa v11, v13, v13 dst_sel:DWORD dst_unused:UNUSED_PAD src0_sel:DWORD src1_sel:WORD_1
	ds_read_u16 v4, v10 offset:2602
	v_pk_add_f16 v12, v7, v13
	v_mov_b32_e32 v7, 0
	v_mov_b32_e32 v8, 0
	v_pack_b32_f16 v12, v12, 0
	s_waitcnt lgkmcnt(0)
	v_xor_b32_e32 v4, 0x8000, v4
	ds_write_b16 v10, v4 offset:2602
.LBB0_21:
	s_or_b32 exec_lo, exec_lo, s0
	v_lshlrev_b64 v[7:8], 2, v[7:8]
	v_add_co_u32 v7, s0, s1, v7
	v_add_co_ci_u32_e64 v8, s0, s4, v8, s0
	global_load_dword v4, v[7:8], off offset:520
	s_waitcnt lgkmcnt(0)
	s_clause 0x1
	global_load_dword v13, v[7:8], off offset:1040
	global_load_dword v14, v[7:8], off offset:1560
	v_add_co_u32 v7, s0, 0x800, v7
	v_add_co_ci_u32_e64 v8, s0, 0, v8, s0
	global_load_dword v7, v[7:8], off offset:32
	ds_write_b16 v9, v10 offset:5202
	ds_write_b32 v0, v12
	ds_write_b16 v9, v11 offset:5200
	ds_read_b32 v8, v0 offset:520
	ds_read_b32 v10, v9 offset:4680
	s_waitcnt lgkmcnt(0)
	v_pk_add_f16 v11, v8, v10 neg_lo:[0,1] neg_hi:[0,1]
	v_pk_add_f16 v8, v8, v10
	v_bfi_b32 v10, 0xffff, v11, v8
	v_bfi_b32 v8, 0xffff, v8, v11
	v_pk_mul_f16 v10, v10, 0.5 op_sel_hi:[1,0]
	v_pk_mul_f16 v8, v8, 0.5 op_sel_hi:[1,0]
	s_waitcnt vmcnt(3)
	v_pk_fma_f16 v11, v4, v10, v8 op_sel:[1,0,0]
	v_pk_mul_f16 v12, v4, v10 op_sel_hi:[0,1]
	v_pk_fma_f16 v15, v4, v10, v8 op_sel:[1,0,0] neg_lo:[1,0,0] neg_hi:[1,0,0]
	v_pk_fma_f16 v4, v4, v10, v8 op_sel:[1,0,0] neg_lo:[0,0,1] neg_hi:[0,0,1]
	v_pk_add_f16 v8, v11, v12 op_sel:[0,1] op_sel_hi:[1,0]
	v_pk_add_f16 v10, v11, v12 op_sel:[0,1] op_sel_hi:[1,0] neg_lo:[0,1] neg_hi:[0,1]
	v_pk_add_f16 v11, v15, v12 op_sel:[0,1] op_sel_hi:[1,0] neg_lo:[0,1] neg_hi:[0,1]
	v_pk_add_f16 v4, v4, v12 op_sel:[0,1] op_sel_hi:[1,0] neg_lo:[0,1] neg_hi:[0,1]
	v_bfi_b32 v8, 0xffff, v8, v10
	v_bfi_b32 v4, 0xffff, v11, v4
	ds_write_b32 v0, v8 offset:520
	ds_write_b32 v9, v4 offset:4680
	ds_read_b32 v4, v0 offset:1040
	ds_read_b32 v8, v9 offset:4160
	s_waitcnt lgkmcnt(0)
	v_pk_add_f16 v10, v4, v8 neg_lo:[0,1] neg_hi:[0,1]
	v_pk_add_f16 v4, v4, v8
	v_bfi_b32 v8, 0xffff, v10, v4
	v_bfi_b32 v4, 0xffff, v4, v10
	v_pk_mul_f16 v8, v8, 0.5 op_sel_hi:[1,0]
	v_pk_mul_f16 v4, v4, 0.5 op_sel_hi:[1,0]
	s_waitcnt vmcnt(2)
	v_pk_mul_f16 v11, v13, v8 op_sel_hi:[0,1]
	v_pk_fma_f16 v10, v13, v8, v4 op_sel:[1,0,0]
	v_pk_fma_f16 v12, v13, v8, v4 op_sel:[1,0,0] neg_lo:[1,0,0] neg_hi:[1,0,0]
	v_pk_fma_f16 v4, v13, v8, v4 op_sel:[1,0,0] neg_lo:[0,0,1] neg_hi:[0,0,1]
	v_pk_add_f16 v8, v10, v11 op_sel:[0,1] op_sel_hi:[1,0]
	v_pk_add_f16 v10, v10, v11 op_sel:[0,1] op_sel_hi:[1,0] neg_lo:[0,1] neg_hi:[0,1]
	v_pk_add_f16 v12, v12, v11 op_sel:[0,1] op_sel_hi:[1,0] neg_lo:[0,1] neg_hi:[0,1]
	v_pk_add_f16 v4, v4, v11 op_sel:[0,1] op_sel_hi:[1,0] neg_lo:[0,1] neg_hi:[0,1]
	v_bfi_b32 v8, 0xffff, v8, v10
	v_bfi_b32 v4, 0xffff, v12, v4
	ds_write_b32 v0, v8 offset:1040
	ds_write_b32 v9, v4 offset:4160
	ds_read_b32 v4, v0 offset:1560
	ds_read_b32 v8, v9 offset:3640
	s_waitcnt lgkmcnt(0)
	v_pk_add_f16 v10, v4, v8 neg_lo:[0,1] neg_hi:[0,1]
	v_pk_add_f16 v4, v4, v8
	v_bfi_b32 v8, 0xffff, v10, v4
	v_bfi_b32 v4, 0xffff, v4, v10
	v_pk_mul_f16 v8, v8, 0.5 op_sel_hi:[1,0]
	v_pk_mul_f16 v4, v4, 0.5 op_sel_hi:[1,0]
	s_waitcnt vmcnt(1)
	v_pk_mul_f16 v11, v14, v8 op_sel_hi:[0,1]
	v_pk_fma_f16 v10, v14, v8, v4 op_sel:[1,0,0]
	v_pk_fma_f16 v12, v14, v8, v4 op_sel:[1,0,0] neg_lo:[1,0,0] neg_hi:[1,0,0]
	v_pk_fma_f16 v4, v14, v8, v4 op_sel:[1,0,0] neg_lo:[0,0,1] neg_hi:[0,0,1]
	v_pk_add_f16 v8, v10, v11 op_sel:[0,1] op_sel_hi:[1,0]
	v_pk_add_f16 v10, v10, v11 op_sel:[0,1] op_sel_hi:[1,0] neg_lo:[0,1] neg_hi:[0,1]
	v_pk_add_f16 v12, v12, v11 op_sel:[0,1] op_sel_hi:[1,0] neg_lo:[0,1] neg_hi:[0,1]
	v_pk_add_f16 v4, v4, v11 op_sel:[0,1] op_sel_hi:[1,0] neg_lo:[0,1] neg_hi:[0,1]
	v_bfi_b32 v8, 0xffff, v8, v10
	v_bfi_b32 v4, 0xffff, v12, v4
	ds_write_b32 v0, v8 offset:1560
	ds_write_b32 v9, v4 offset:3640
	ds_read_b32 v4, v0 offset:2080
	ds_read_b32 v8, v9 offset:3120
	s_waitcnt lgkmcnt(0)
	v_pk_add_f16 v10, v4, v8 neg_lo:[0,1] neg_hi:[0,1]
	v_pk_add_f16 v4, v4, v8
	v_bfi_b32 v8, 0xffff, v10, v4
	v_bfi_b32 v4, 0xffff, v4, v10
	v_pk_mul_f16 v8, v8, 0.5 op_sel_hi:[1,0]
	v_pk_mul_f16 v4, v4, 0.5 op_sel_hi:[1,0]
	s_waitcnt vmcnt(0)
	v_pk_mul_f16 v11, v7, v8 op_sel_hi:[0,1]
	v_pk_fma_f16 v10, v7, v8, v4 op_sel:[1,0,0]
	v_pk_fma_f16 v12, v7, v8, v4 op_sel:[1,0,0] neg_lo:[1,0,0] neg_hi:[1,0,0]
	v_pk_fma_f16 v4, v7, v8, v4 op_sel:[1,0,0] neg_lo:[0,0,1] neg_hi:[0,0,1]
	v_pk_add_f16 v7, v10, v11 op_sel:[0,1] op_sel_hi:[1,0]
	v_pk_add_f16 v8, v10, v11 op_sel:[0,1] op_sel_hi:[1,0] neg_lo:[0,1] neg_hi:[0,1]
	v_pk_add_f16 v10, v12, v11 op_sel:[0,1] op_sel_hi:[1,0] neg_lo:[0,1] neg_hi:[0,1]
	;; [unrolled: 1-line block ×3, first 2 shown]
	v_bfi_b32 v7, 0xffff, v7, v8
	v_bfi_b32 v4, 0xffff, v10, v4
	ds_write_b32 v0, v7 offset:2080
	ds_write_b32 v9, v4 offset:3120
	s_waitcnt lgkmcnt(0)
	s_barrier
	buffer_gl0_inv
	s_and_saveexec_b32 s0, vcc_lo
	s_cbranch_execz .LBB0_24
; %bb.22:
	v_mul_lo_u32 v0, s3, v5
	v_mul_lo_u32 v7, s2, v6
	v_mad_u64_u32 v[5:6], null, s2, v5, 0
	v_lshl_add_u32 v17, v3, 2, 0
	v_mov_b32_e32 v4, 0
	v_add_nc_u32_e32 v9, 0x104, v3
	v_add_nc_u32_e32 v15, 0x208, v3
	ds_read2_b32 v[11:12], v17 offset1:130
	v_add3_u32 v6, v6, v7, v0
	v_lshlrev_b64 v[0:1], 2, v[1:2]
	v_add_nc_u32_e32 v7, 0x82, v3
	v_mov_b32_e32 v8, v4
	v_lshlrev_b64 v[13:14], 2, v[3:4]
	v_lshlrev_b64 v[5:6], 2, v[5:6]
	v_mov_b32_e32 v10, v4
	v_mov_b32_e32 v16, v4
	v_lshlrev_b64 v[7:8], 2, v[7:8]
	v_add_co_u32 v2, vcc_lo, s10, v5
	v_add_co_ci_u32_e32 v5, vcc_lo, s11, v6, vcc_lo
	v_add_nc_u32_e32 v6, 0x400, v17
	v_add_co_u32 v0, vcc_lo, v2, v0
	v_add_co_ci_u32_e32 v1, vcc_lo, v5, v1, vcc_lo
	ds_read2_b32 v[5:6], v6 offset0:4 offset1:134
	v_add_co_u32 v13, vcc_lo, v0, v13
	v_lshlrev_b64 v[9:10], 2, v[9:10]
	v_add_co_ci_u32_e32 v14, vcc_lo, v1, v14, vcc_lo
	v_add_co_u32 v7, vcc_lo, v0, v7
	v_add_co_ci_u32_e32 v8, vcc_lo, v1, v8, vcc_lo
	v_add_co_u32 v9, vcc_lo, v0, v9
	v_add_co_ci_u32_e32 v10, vcc_lo, v1, v10, vcc_lo
	v_add_nc_u32_e32 v2, 0x800, v17
	s_waitcnt lgkmcnt(1)
	global_store_dword v[13:14], v11, off
	v_add_nc_u32_e32 v13, 0x186, v3
	v_mov_b32_e32 v14, v4
	global_store_dword v[7:8], v12, off
	s_waitcnt lgkmcnt(0)
	global_store_dword v[9:10], v5, off
	ds_read2_b32 v[9:10], v2 offset0:8 offset1:138
	v_lshlrev_b64 v[11:12], 2, v[15:16]
	v_lshlrev_b64 v[7:8], 2, v[13:14]
	v_add_nc_u32_e32 v13, 0x28a, v3
	v_add_nc_u32_e32 v15, 0x30c, v3
	;; [unrolled: 1-line block ×3, first 2 shown]
	v_add_co_u32 v7, vcc_lo, v0, v7
	v_lshlrev_b64 v[13:14], 2, v[13:14]
	v_add_co_ci_u32_e32 v8, vcc_lo, v1, v8, vcc_lo
	v_add_co_u32 v11, vcc_lo, v0, v11
	v_add_co_ci_u32_e32 v12, vcc_lo, v1, v12, vcc_lo
	v_add_co_u32 v13, vcc_lo, v0, v13
	v_add_co_ci_u32_e32 v14, vcc_lo, v1, v14, vcc_lo
	global_store_dword v[7:8], v6, off
	s_waitcnt lgkmcnt(0)
	global_store_dword v[11:12], v9, off
	global_store_dword v[13:14], v10, off
	v_add_nc_u32_e32 v9, 0x38e, v3
	v_mov_b32_e32 v10, v4
	ds_read2_b32 v[5:6], v2 offset0:12 offset1:142
	v_lshlrev_b64 v[7:8], 2, v[15:16]
	v_add_nc_u32_e32 v2, 0x1000, v17
	v_add_nc_u32_e32 v11, 0x410, v3
	v_mov_b32_e32 v12, v4
	v_lshlrev_b64 v[9:10], 2, v[9:10]
	v_add_nc_u32_e32 v15, 0x492, v3
	ds_read2_b32 v[13:14], v2 offset0:16 offset1:146
	v_add_co_u32 v7, vcc_lo, v0, v7
	v_lshlrev_b64 v[11:12], 2, v[11:12]
	v_add_co_ci_u32_e32 v8, vcc_lo, v1, v8, vcc_lo
	v_add_co_u32 v9, vcc_lo, v0, v9
	v_lshlrev_b64 v[15:16], 2, v[15:16]
	v_add_co_ci_u32_e32 v10, vcc_lo, v1, v10, vcc_lo
	v_add_co_u32 v11, vcc_lo, v0, v11
	v_add_co_ci_u32_e32 v12, vcc_lo, v1, v12, vcc_lo
	v_add_co_u32 v15, vcc_lo, v0, v15
	v_add_co_ci_u32_e32 v16, vcc_lo, v1, v16, vcc_lo
	v_cmp_eq_u32_e32 vcc_lo, 0x81, v3
	s_waitcnt lgkmcnt(1)
	global_store_dword v[7:8], v5, off
	global_store_dword v[9:10], v6, off
	s_waitcnt lgkmcnt(0)
	global_store_dword v[11:12], v13, off
	global_store_dword v[15:16], v14, off
	s_and_b32 exec_lo, exec_lo, vcc_lo
	s_cbranch_execz .LBB0_24
; %bb.23:
	ds_read_b32 v2, v4 offset:5200
	v_add_co_u32 v0, vcc_lo, 0x1000, v0
	v_add_co_ci_u32_e32 v1, vcc_lo, 0, v1, vcc_lo
	s_waitcnt lgkmcnt(0)
	global_store_dword v[0:1], v2, off offset:1104
.LBB0_24:
	s_endpgm
	.section	.rodata,"a",@progbits
	.p2align	6, 0x0
	.amdhsa_kernel fft_rtc_fwd_len1300_factors_10_10_13_wgs_130_tpt_130_half_op_CI_CI_unitstride_sbrr_R2C_dirReg
		.amdhsa_group_segment_fixed_size 0
		.amdhsa_private_segment_fixed_size 0
		.amdhsa_kernarg_size 104
		.amdhsa_user_sgpr_count 6
		.amdhsa_user_sgpr_private_segment_buffer 1
		.amdhsa_user_sgpr_dispatch_ptr 0
		.amdhsa_user_sgpr_queue_ptr 0
		.amdhsa_user_sgpr_kernarg_segment_ptr 1
		.amdhsa_user_sgpr_dispatch_id 0
		.amdhsa_user_sgpr_flat_scratch_init 0
		.amdhsa_user_sgpr_private_segment_size 0
		.amdhsa_wavefront_size32 1
		.amdhsa_uses_dynamic_stack 0
		.amdhsa_system_sgpr_private_segment_wavefront_offset 0
		.amdhsa_system_sgpr_workgroup_id_x 1
		.amdhsa_system_sgpr_workgroup_id_y 0
		.amdhsa_system_sgpr_workgroup_id_z 0
		.amdhsa_system_sgpr_workgroup_info 0
		.amdhsa_system_vgpr_workitem_id 0
		.amdhsa_next_free_vgpr 94
		.amdhsa_next_free_sgpr 27
		.amdhsa_reserve_vcc 1
		.amdhsa_reserve_flat_scratch 0
		.amdhsa_float_round_mode_32 0
		.amdhsa_float_round_mode_16_64 0
		.amdhsa_float_denorm_mode_32 3
		.amdhsa_float_denorm_mode_16_64 3
		.amdhsa_dx10_clamp 1
		.amdhsa_ieee_mode 1
		.amdhsa_fp16_overflow 0
		.amdhsa_workgroup_processor_mode 1
		.amdhsa_memory_ordered 1
		.amdhsa_forward_progress 0
		.amdhsa_shared_vgpr_count 0
		.amdhsa_exception_fp_ieee_invalid_op 0
		.amdhsa_exception_fp_denorm_src 0
		.amdhsa_exception_fp_ieee_div_zero 0
		.amdhsa_exception_fp_ieee_overflow 0
		.amdhsa_exception_fp_ieee_underflow 0
		.amdhsa_exception_fp_ieee_inexact 0
		.amdhsa_exception_int_div_zero 0
	.end_amdhsa_kernel
	.text
.Lfunc_end0:
	.size	fft_rtc_fwd_len1300_factors_10_10_13_wgs_130_tpt_130_half_op_CI_CI_unitstride_sbrr_R2C_dirReg, .Lfunc_end0-fft_rtc_fwd_len1300_factors_10_10_13_wgs_130_tpt_130_half_op_CI_CI_unitstride_sbrr_R2C_dirReg
                                        ; -- End function
	.section	.AMDGPU.csdata,"",@progbits
; Kernel info:
; codeLenInByte = 9664
; NumSgprs: 29
; NumVgprs: 94
; ScratchSize: 0
; MemoryBound: 0
; FloatMode: 240
; IeeeMode: 1
; LDSByteSize: 0 bytes/workgroup (compile time only)
; SGPRBlocks: 3
; VGPRBlocks: 11
; NumSGPRsForWavesPerEU: 29
; NumVGPRsForWavesPerEU: 94
; Occupancy: 10
; WaveLimiterHint : 1
; COMPUTE_PGM_RSRC2:SCRATCH_EN: 0
; COMPUTE_PGM_RSRC2:USER_SGPR: 6
; COMPUTE_PGM_RSRC2:TRAP_HANDLER: 0
; COMPUTE_PGM_RSRC2:TGID_X_EN: 1
; COMPUTE_PGM_RSRC2:TGID_Y_EN: 0
; COMPUTE_PGM_RSRC2:TGID_Z_EN: 0
; COMPUTE_PGM_RSRC2:TIDIG_COMP_CNT: 0
	.text
	.p2alignl 6, 3214868480
	.fill 48, 4, 3214868480
	.type	__hip_cuid_af22793f76a9ad1f,@object ; @__hip_cuid_af22793f76a9ad1f
	.section	.bss,"aw",@nobits
	.globl	__hip_cuid_af22793f76a9ad1f
__hip_cuid_af22793f76a9ad1f:
	.byte	0                               ; 0x0
	.size	__hip_cuid_af22793f76a9ad1f, 1

	.ident	"AMD clang version 19.0.0git (https://github.com/RadeonOpenCompute/llvm-project roc-6.4.0 25133 c7fe45cf4b819c5991fe208aaa96edf142730f1d)"
	.section	".note.GNU-stack","",@progbits
	.addrsig
	.addrsig_sym __hip_cuid_af22793f76a9ad1f
	.amdgpu_metadata
---
amdhsa.kernels:
  - .args:
      - .actual_access:  read_only
        .address_space:  global
        .offset:         0
        .size:           8
        .value_kind:     global_buffer
      - .offset:         8
        .size:           8
        .value_kind:     by_value
      - .actual_access:  read_only
        .address_space:  global
        .offset:         16
        .size:           8
        .value_kind:     global_buffer
      - .actual_access:  read_only
        .address_space:  global
        .offset:         24
        .size:           8
        .value_kind:     global_buffer
      - .actual_access:  read_only
        .address_space:  global
        .offset:         32
        .size:           8
        .value_kind:     global_buffer
      - .offset:         40
        .size:           8
        .value_kind:     by_value
      - .actual_access:  read_only
        .address_space:  global
        .offset:         48
        .size:           8
        .value_kind:     global_buffer
      - .actual_access:  read_only
        .address_space:  global
        .offset:         56
        .size:           8
        .value_kind:     global_buffer
      - .offset:         64
        .size:           4
        .value_kind:     by_value
      - .actual_access:  read_only
        .address_space:  global
        .offset:         72
        .size:           8
        .value_kind:     global_buffer
      - .actual_access:  read_only
        .address_space:  global
        .offset:         80
        .size:           8
        .value_kind:     global_buffer
      - .actual_access:  read_only
        .address_space:  global
        .offset:         88
        .size:           8
        .value_kind:     global_buffer
      - .actual_access:  write_only
        .address_space:  global
        .offset:         96
        .size:           8
        .value_kind:     global_buffer
    .group_segment_fixed_size: 0
    .kernarg_segment_align: 8
    .kernarg_segment_size: 104
    .language:       OpenCL C
    .language_version:
      - 2
      - 0
    .max_flat_workgroup_size: 130
    .name:           fft_rtc_fwd_len1300_factors_10_10_13_wgs_130_tpt_130_half_op_CI_CI_unitstride_sbrr_R2C_dirReg
    .private_segment_fixed_size: 0
    .sgpr_count:     29
    .sgpr_spill_count: 0
    .symbol:         fft_rtc_fwd_len1300_factors_10_10_13_wgs_130_tpt_130_half_op_CI_CI_unitstride_sbrr_R2C_dirReg.kd
    .uniform_work_group_size: 1
    .uses_dynamic_stack: false
    .vgpr_count:     94
    .vgpr_spill_count: 0
    .wavefront_size: 32
    .workgroup_processor_mode: 1
amdhsa.target:   amdgcn-amd-amdhsa--gfx1030
amdhsa.version:
  - 1
  - 2
...

	.end_amdgpu_metadata
